;; amdgpu-corpus repo=llvm/llvm-project kind=harvested arch=n/a opt=n/a
// NOTE: Assertions have been autogenerated by utils/update_mc_test_checks.py UTC_ARGS: --unique --version 5
// RUN: llvm-mc -triple=amdgcn -mcpu=gfx1170 -mattr=+real-true16 -show-encoding -comment-column=0 %s | FileCheck --strict-whitespace --check-prefixes=GFX1170 %s
// RUN: llvm-mc -triple=amdgcn -mcpu=gfx1170 -mattr=+real-true16 -show-encoding %s | sed -n 's#.*\(\[0x[0-9a-fx,]\{1,\}\]\)#\1#p' | llvm-mc -triple=amdgcn -mcpu=gfx1170 -mattr=+wavefrontsize32,+real-true16 -disassemble -show-encoding -comment-column=0 | FileCheck --strict-whitespace --check-prefixes=GFX1170 %s

v_cvt_f32_bf8_e32 v1, s3
// GFX1170: v_cvt_f32_bf8_e32 v1, s3 ; encoding: [0x03,0xda,0x02,0x7e]

v_cvt_f32_bf8_e32 v1, 3
// GFX1170: v_cvt_f32_bf8_e32 v1, 3 ; encoding: [0x83,0xda,0x02,0x7e]
	;; [unrolled: 3-line block ×3, first 2 shown]

v_cvt_f32_fp8_e32 v1, s3
// GFX1170: v_cvt_f32_fp8_e32 v1, s3 ; encoding: [0x03,0xd8,0x02,0x7e]

v_cvt_f32_fp8_e32 v1, 3
// GFX1170: v_cvt_f32_fp8_e32 v1, 3 ; encoding: [0x83,0xd8,0x02,0x7e]
	;; [unrolled: 3-line block ×3, first 2 shown]

v_cvt_pk_f32_bf8_e32 v[2:3], s3
// GFX1170: v_cvt_pk_f32_bf8_e32 v[2:3], s3 ; encoding: [0x03,0xde,0x04,0x7e]

v_cvt_pk_f32_bf8_e32 v[3:4], s5
// GFX1170: v_cvt_pk_f32_bf8_e32 v[3:4], s5 ; encoding: [0x05,0xde,0x06,0x7e]
	;; [unrolled: 3-line block ×4, first 2 shown]

v_cvt_pk_f32_bf8_e32 v[2:3], v3.l
// GFX1170: v_cvt_pk_f32_bf8_e32 v[2:3], v3.l ; encoding: [0x03,0xdf,0x04,0x7e]

v_cvt_pk_f32_bf8_e32 v[3:4], v3.l
// GFX1170: v_cvt_pk_f32_bf8_e32 v[3:4], v3.l ; encoding: [0x03,0xdf,0x06,0x7e]

v_cvt_pk_f32_bf8_e32 v[3:4], v3.h
// GFX1170: v_cvt_pk_f32_bf8_e32 v[3:4], v3.h ; encoding: [0x83,0xdf,0x06,0x7e]

v_cvt_pk_f32_fp8_e32 v[2:3], s3
// GFX1170: v_cvt_pk_f32_fp8_e32 v[2:3], s3 ; encoding: [0x03,0xdc,0x04,0x7e]

v_cvt_pk_f32_fp8_e32 v[2:3], 3
// GFX1170: v_cvt_pk_f32_fp8_e32 v[2:3], 3 ; encoding: [0x83,0xdc,0x04,0x7e]

v_cvt_pk_f32_fp8_e32 v[2:3], v3.l
// GFX1170: v_cvt_pk_f32_fp8_e32 v[2:3], v3.l ; encoding: [0x03,0xdd,0x04,0x7e]

v_cvt_pk_f32_fp8_e32 v[2:3], v3.h
// GFX1170: v_cvt_pk_f32_fp8_e32 v[2:3], v3.h ; encoding: [0x83,0xdd,0x04,0x7e]
